;; amdgpu-corpus repo=ROCm/rocFFT kind=compiled arch=gfx906 opt=O3
	.text
	.amdgcn_target "amdgcn-amd-amdhsa--gfx906"
	.amdhsa_code_object_version 6
	.protected	fft_rtc_back_len840_factors_2_2_2_3_5_7_wgs_56_tpt_56_halfLds_sp_op_CI_CI_unitstride_sbrr_dirReg ; -- Begin function fft_rtc_back_len840_factors_2_2_2_3_5_7_wgs_56_tpt_56_halfLds_sp_op_CI_CI_unitstride_sbrr_dirReg
	.globl	fft_rtc_back_len840_factors_2_2_2_3_5_7_wgs_56_tpt_56_halfLds_sp_op_CI_CI_unitstride_sbrr_dirReg
	.p2align	8
	.type	fft_rtc_back_len840_factors_2_2_2_3_5_7_wgs_56_tpt_56_halfLds_sp_op_CI_CI_unitstride_sbrr_dirReg,@function
fft_rtc_back_len840_factors_2_2_2_3_5_7_wgs_56_tpt_56_halfLds_sp_op_CI_CI_unitstride_sbrr_dirReg: ; @fft_rtc_back_len840_factors_2_2_2_3_5_7_wgs_56_tpt_56_halfLds_sp_op_CI_CI_unitstride_sbrr_dirReg
; %bb.0:
	s_load_dwordx4 s[12:15], s[4:5], 0x58
	s_load_dwordx4 s[8:11], s[4:5], 0x0
	;; [unrolled: 1-line block ×3, first 2 shown]
	v_mul_u32_u24_e32 v1, 0x493, v0
	v_mov_b32_e32 v7, 0
	v_mov_b32_e32 v5, 0
	s_waitcnt lgkmcnt(0)
	v_cmp_lt_u64_e64 s[0:1], s[10:11], 2
	v_add_u32_sdwa v9, s6, v1 dst_sel:DWORD dst_unused:UNUSED_PAD src0_sel:DWORD src1_sel:WORD_1
	v_mov_b32_e32 v10, v7
	s_and_b64 vcc, exec, s[0:1]
	v_mov_b32_e32 v6, 0
	s_cbranch_vccnz .LBB0_8
; %bb.1:
	s_load_dwordx2 s[0:1], s[4:5], 0x10
	s_add_u32 s2, s18, 8
	s_addc_u32 s3, s19, 0
	s_add_u32 s6, s16, 8
	s_addc_u32 s7, s17, 0
	v_mov_b32_e32 v5, 0
	s_waitcnt lgkmcnt(0)
	s_add_u32 s20, s0, 8
	v_mov_b32_e32 v6, 0
	v_mov_b32_e32 v1, v5
	s_addc_u32 s21, s1, 0
	s_mov_b64 s[22:23], 1
	v_mov_b32_e32 v2, v6
.LBB0_2:                                ; =>This Inner Loop Header: Depth=1
	s_load_dwordx2 s[24:25], s[20:21], 0x0
                                        ; implicit-def: $vgpr3_vgpr4
	s_waitcnt lgkmcnt(0)
	v_or_b32_e32 v8, s25, v10
	v_cmp_ne_u64_e32 vcc, 0, v[7:8]
	s_and_saveexec_b64 s[0:1], vcc
	s_xor_b64 s[26:27], exec, s[0:1]
	s_cbranch_execz .LBB0_4
; %bb.3:                                ;   in Loop: Header=BB0_2 Depth=1
	v_cvt_f32_u32_e32 v3, s24
	v_cvt_f32_u32_e32 v4, s25
	s_sub_u32 s0, 0, s24
	s_subb_u32 s1, 0, s25
	v_mac_f32_e32 v3, 0x4f800000, v4
	v_rcp_f32_e32 v3, v3
	v_mul_f32_e32 v3, 0x5f7ffffc, v3
	v_mul_f32_e32 v4, 0x2f800000, v3
	v_trunc_f32_e32 v4, v4
	v_mac_f32_e32 v3, 0xcf800000, v4
	v_cvt_u32_f32_e32 v4, v4
	v_cvt_u32_f32_e32 v3, v3
	v_mul_lo_u32 v8, s0, v4
	v_mul_hi_u32 v11, s0, v3
	v_mul_lo_u32 v13, s1, v3
	v_mul_lo_u32 v12, s0, v3
	v_add_u32_e32 v8, v11, v8
	v_add_u32_e32 v8, v8, v13
	v_mul_hi_u32 v11, v3, v12
	v_mul_lo_u32 v13, v3, v8
	v_mul_hi_u32 v15, v3, v8
	v_mul_hi_u32 v14, v4, v12
	v_mul_lo_u32 v12, v4, v12
	v_mul_hi_u32 v16, v4, v8
	v_add_co_u32_e32 v11, vcc, v11, v13
	v_addc_co_u32_e32 v13, vcc, 0, v15, vcc
	v_mul_lo_u32 v8, v4, v8
	v_add_co_u32_e32 v11, vcc, v11, v12
	v_addc_co_u32_e32 v11, vcc, v13, v14, vcc
	v_addc_co_u32_e32 v12, vcc, 0, v16, vcc
	v_add_co_u32_e32 v8, vcc, v11, v8
	v_addc_co_u32_e32 v11, vcc, 0, v12, vcc
	v_add_co_u32_e32 v3, vcc, v3, v8
	v_addc_co_u32_e32 v4, vcc, v4, v11, vcc
	v_mul_lo_u32 v8, s0, v4
	v_mul_hi_u32 v11, s0, v3
	v_mul_lo_u32 v12, s1, v3
	v_mul_lo_u32 v13, s0, v3
	v_add_u32_e32 v8, v11, v8
	v_add_u32_e32 v8, v8, v12
	v_mul_lo_u32 v14, v3, v8
	v_mul_hi_u32 v15, v3, v13
	v_mul_hi_u32 v16, v3, v8
	v_mul_hi_u32 v12, v4, v13
	v_mul_lo_u32 v13, v4, v13
	v_mul_hi_u32 v11, v4, v8
	v_add_co_u32_e32 v14, vcc, v15, v14
	v_addc_co_u32_e32 v15, vcc, 0, v16, vcc
	v_mul_lo_u32 v8, v4, v8
	v_add_co_u32_e32 v13, vcc, v14, v13
	v_addc_co_u32_e32 v12, vcc, v15, v12, vcc
	v_addc_co_u32_e32 v11, vcc, 0, v11, vcc
	v_add_co_u32_e32 v8, vcc, v12, v8
	v_addc_co_u32_e32 v11, vcc, 0, v11, vcc
	v_add_co_u32_e32 v8, vcc, v3, v8
	v_addc_co_u32_e32 v11, vcc, v4, v11, vcc
	v_mad_u64_u32 v[3:4], s[0:1], v9, v11, 0
	v_mul_hi_u32 v12, v9, v8
	v_add_co_u32_e32 v13, vcc, v12, v3
	v_addc_co_u32_e32 v14, vcc, 0, v4, vcc
	v_mad_u64_u32 v[3:4], s[0:1], v10, v8, 0
	v_mad_u64_u32 v[11:12], s[0:1], v10, v11, 0
	v_add_co_u32_e32 v3, vcc, v13, v3
	v_addc_co_u32_e32 v3, vcc, v14, v4, vcc
	v_addc_co_u32_e32 v4, vcc, 0, v12, vcc
	v_add_co_u32_e32 v8, vcc, v3, v11
	v_addc_co_u32_e32 v11, vcc, 0, v4, vcc
	v_mul_lo_u32 v12, s25, v8
	v_mul_lo_u32 v13, s24, v11
	v_mad_u64_u32 v[3:4], s[0:1], s24, v8, 0
	v_add3_u32 v4, v4, v13, v12
	v_sub_u32_e32 v12, v10, v4
	v_mov_b32_e32 v13, s25
	v_sub_co_u32_e32 v3, vcc, v9, v3
	v_subb_co_u32_e64 v12, s[0:1], v12, v13, vcc
	v_subrev_co_u32_e64 v13, s[0:1], s24, v3
	v_subbrev_co_u32_e64 v12, s[0:1], 0, v12, s[0:1]
	v_cmp_le_u32_e64 s[0:1], s25, v12
	v_cndmask_b32_e64 v14, 0, -1, s[0:1]
	v_cmp_le_u32_e64 s[0:1], s24, v13
	v_cndmask_b32_e64 v13, 0, -1, s[0:1]
	v_cmp_eq_u32_e64 s[0:1], s25, v12
	v_cndmask_b32_e64 v12, v14, v13, s[0:1]
	v_add_co_u32_e64 v13, s[0:1], 2, v8
	v_addc_co_u32_e64 v14, s[0:1], 0, v11, s[0:1]
	v_add_co_u32_e64 v15, s[0:1], 1, v8
	v_addc_co_u32_e64 v16, s[0:1], 0, v11, s[0:1]
	v_subb_co_u32_e32 v4, vcc, v10, v4, vcc
	v_cmp_ne_u32_e64 s[0:1], 0, v12
	v_cmp_le_u32_e32 vcc, s25, v4
	v_cndmask_b32_e64 v12, v16, v14, s[0:1]
	v_cndmask_b32_e64 v14, 0, -1, vcc
	v_cmp_le_u32_e32 vcc, s24, v3
	v_cndmask_b32_e64 v3, 0, -1, vcc
	v_cmp_eq_u32_e32 vcc, s25, v4
	v_cndmask_b32_e32 v3, v14, v3, vcc
	v_cmp_ne_u32_e32 vcc, 0, v3
	v_cndmask_b32_e64 v3, v15, v13, s[0:1]
	v_cndmask_b32_e32 v4, v11, v12, vcc
	v_cndmask_b32_e32 v3, v8, v3, vcc
.LBB0_4:                                ;   in Loop: Header=BB0_2 Depth=1
	s_andn2_saveexec_b64 s[0:1], s[26:27]
	s_cbranch_execz .LBB0_6
; %bb.5:                                ;   in Loop: Header=BB0_2 Depth=1
	v_cvt_f32_u32_e32 v3, s24
	s_sub_i32 s26, 0, s24
	v_rcp_iflag_f32_e32 v3, v3
	v_mul_f32_e32 v3, 0x4f7ffffe, v3
	v_cvt_u32_f32_e32 v3, v3
	v_mul_lo_u32 v4, s26, v3
	v_mul_hi_u32 v4, v3, v4
	v_add_u32_e32 v3, v3, v4
	v_mul_hi_u32 v3, v9, v3
	v_mul_lo_u32 v4, v3, s24
	v_add_u32_e32 v8, 1, v3
	v_sub_u32_e32 v4, v9, v4
	v_subrev_u32_e32 v11, s24, v4
	v_cmp_le_u32_e32 vcc, s24, v4
	v_cndmask_b32_e32 v4, v4, v11, vcc
	v_cndmask_b32_e32 v3, v3, v8, vcc
	v_add_u32_e32 v8, 1, v3
	v_cmp_le_u32_e32 vcc, s24, v4
	v_cndmask_b32_e32 v3, v3, v8, vcc
	v_mov_b32_e32 v4, v7
.LBB0_6:                                ;   in Loop: Header=BB0_2 Depth=1
	s_or_b64 exec, exec, s[0:1]
	v_mul_lo_u32 v8, v4, s24
	v_mul_lo_u32 v13, v3, s25
	v_mad_u64_u32 v[11:12], s[0:1], v3, s24, 0
	s_load_dwordx2 s[0:1], s[6:7], 0x0
	s_load_dwordx2 s[24:25], s[2:3], 0x0
	v_add3_u32 v8, v12, v13, v8
	v_sub_co_u32_e32 v9, vcc, v9, v11
	v_subb_co_u32_e32 v8, vcc, v10, v8, vcc
	s_waitcnt lgkmcnt(0)
	v_mul_lo_u32 v10, s0, v8
	v_mul_lo_u32 v11, s1, v9
	v_mad_u64_u32 v[5:6], s[0:1], s0, v9, v[5:6]
	v_mul_lo_u32 v8, s24, v8
	v_mul_lo_u32 v12, s25, v9
	v_mad_u64_u32 v[1:2], s[0:1], s24, v9, v[1:2]
	s_add_u32 s22, s22, 1
	s_addc_u32 s23, s23, 0
	s_add_u32 s2, s2, 8
	v_add3_u32 v2, v12, v2, v8
	s_addc_u32 s3, s3, 0
	v_mov_b32_e32 v8, s10
	s_add_u32 s6, s6, 8
	v_mov_b32_e32 v9, s11
	s_addc_u32 s7, s7, 0
	v_cmp_ge_u64_e32 vcc, s[22:23], v[8:9]
	s_add_u32 s20, s20, 8
	v_add3_u32 v6, v11, v6, v10
	s_addc_u32 s21, s21, 0
	s_cbranch_vccnz .LBB0_9
; %bb.7:                                ;   in Loop: Header=BB0_2 Depth=1
	v_mov_b32_e32 v10, v4
	v_mov_b32_e32 v9, v3
	s_branch .LBB0_2
.LBB0_8:
	v_mov_b32_e32 v1, v5
	v_mov_b32_e32 v3, v9
	;; [unrolled: 1-line block ×4, first 2 shown]
.LBB0_9:
	s_load_dwordx2 s[4:5], s[4:5], 0x28
	s_lshl_b64 s[6:7], s[10:11], 3
	s_add_u32 s2, s18, s6
	s_addc_u32 s3, s19, s7
                                        ; implicit-def: $sgpr10
                                        ; implicit-def: $vgpr52
	s_waitcnt lgkmcnt(0)
	v_cmp_gt_u64_e64 s[0:1], s[4:5], v[3:4]
	v_cmp_le_u64_e32 vcc, s[4:5], v[3:4]
	s_and_saveexec_b64 s[4:5], vcc
	s_xor_b64 s[4:5], exec, s[4:5]
; %bb.10:
	s_mov_b32 s10, 0x4924925
	v_mul_hi_u32 v5, v0, s10
	s_mov_b32 s10, 0
	v_mul_u32_u24_e32 v5, 56, v5
	v_sub_u32_e32 v52, v0, v5
                                        ; implicit-def: $vgpr0
                                        ; implicit-def: $vgpr5_vgpr6
; %bb.11:
	s_or_saveexec_b64 s[4:5], s[4:5]
	s_load_dwordx2 s[2:3], s[2:3], 0x0
	v_mov_b32_e32 v21, s10
	v_mov_b32_e32 v20, s10
                                        ; implicit-def: $vgpr19
                                        ; implicit-def: $vgpr31
                                        ; implicit-def: $vgpr23
                                        ; implicit-def: $vgpr25
                                        ; implicit-def: $vgpr27
                                        ; implicit-def: $vgpr15
                                        ; implicit-def: $vgpr29
                                        ; implicit-def: $vgpr17
                                        ; implicit-def: $vgpr33
                                        ; implicit-def: $vgpr35
                                        ; implicit-def: $vgpr43
                                        ; implicit-def: $vgpr45
                                        ; implicit-def: $vgpr37
                                        ; implicit-def: $vgpr41
                                        ; implicit-def: $vgpr39
	s_xor_b64 exec, exec, s[4:5]
	s_cbranch_execz .LBB0_15
; %bb.12:
	s_add_u32 s6, s16, s6
	s_addc_u32 s7, s17, s7
	s_load_dwordx2 s[6:7], s[6:7], 0x0
	s_mov_b32 s10, 0x4924925
	v_mul_hi_u32 v9, v0, s10
	v_lshlrev_b64 v[5:6], 3, v[5:6]
	v_mov_b32_e32 v20, 0
	s_waitcnt lgkmcnt(0)
	v_mul_lo_u32 v10, s7, v3
	v_mul_lo_u32 v11, s6, v4
	v_mad_u64_u32 v[7:8], s[6:7], s6, v3, 0
	v_mul_u32_u24_e32 v9, 56, v9
	v_sub_u32_e32 v52, v0, v9
	v_add3_u32 v8, v8, v11, v10
	v_lshlrev_b64 v[7:8], 3, v[7:8]
	v_mov_b32_e32 v0, s13
	v_add_co_u32_e32 v7, vcc, s12, v7
	v_addc_co_u32_e32 v0, vcc, v0, v8, vcc
	v_add_co_u32_e32 v5, vcc, v7, v5
	v_addc_co_u32_e32 v0, vcc, v0, v6, vcc
	v_lshlrev_b32_e32 v6, 3, v52
	v_add_co_u32_e32 v5, vcc, v5, v6
	v_addc_co_u32_e32 v6, vcc, 0, v0, vcc
	s_movk_i32 s6, 0x1000
	v_add_co_u32_e32 v7, vcc, s6, v5
	v_addc_co_u32_e32 v8, vcc, 0, v6, vcc
	global_load_dwordx2 v[38:39], v[5:6], off offset:3808
	global_load_dwordx2 v[40:41], v[7:8], off offset:160
	;; [unrolled: 1-line block ×6, first 2 shown]
	global_load_dwordx2 v[18:19], v[5:6], off
	global_load_dwordx2 v[22:23], v[5:6], off offset:448
	global_load_dwordx2 v[24:25], v[5:6], off offset:896
	;; [unrolled: 1-line block ×7, first 2 shown]
	v_cmp_gt_u32_e32 vcc, 28, v52
	v_mov_b32_e32 v21, 0
                                        ; implicit-def: $vgpr44
	s_and_saveexec_b64 s[6:7], vcc
	s_cbranch_execz .LBB0_14
; %bb.13:
	v_add_co_u32_e32 v7, vcc, 0x1000, v5
	v_addc_co_u32_e32 v8, vcc, 0, v6, vcc
	global_load_dwordx2 v[20:21], v[5:6], off offset:3136
	global_load_dwordx2 v[44:45], v[7:8], off offset:2400
.LBB0_14:
	s_or_b64 exec, exec, s[6:7]
.LBB0_15:
	s_or_b64 exec, exec, s[4:5]
	s_waitcnt vmcnt(1)
	v_sub_f32_e32 v6, v18, v30
	v_fma_f32 v5, v18, 2.0, -v6
	v_lshl_add_u32 v18, v52, 3, 0
	ds_write_b64 v18, v[5:6]
	v_sub_f32_e32 v6, v22, v38
	v_add_u32_e32 v0, 56, v52
	v_fma_f32 v5, v22, 2.0, -v6
	v_lshl_add_u32 v22, v0, 3, 0
	ds_write_b64 v22, v[5:6]
	v_sub_f32_e32 v6, v24, v40
	v_add_u32_e32 v53, 0x70, v52
	;; [unrolled: 5-line block ×5, first 2 shown]
	v_fma_f32 v5, v32, 2.0, -v6
	v_lshl_add_u32 v30, v34, 3, 0
	ds_write_b64 v30, v[5:6]
	s_waitcnt vmcnt(0)
	v_sub_f32_e32 v6, v42, v36
	v_add_u32_e32 v36, 0x150, v52
	v_fma_f32 v5, v42, 2.0, -v6
	v_lshl_add_u32 v38, v36, 3, 0
	ds_write_b64 v38, v[5:6]
	v_sub_f32_e32 v6, v20, v44
	v_add_u32_e32 v32, 0x188, v52
	v_fma_f32 v5, v20, 2.0, -v6
	v_cmp_gt_u32_e32 vcc, 28, v52
	v_lshl_add_u32 v20, v32, 3, 0
	s_and_saveexec_b64 s[4:5], vcc
	s_cbranch_execz .LBB0_17
; %bb.16:
	ds_write_b64 v20, v[5:6]
.LBB0_17:
	s_or_b64 exec, exec, s[4:5]
	v_lshl_add_u32 v54, v52, 2, 0
	v_add_u32_e32 v7, 0x400, v54
	s_waitcnt lgkmcnt(0)
	; wave barrier
	s_waitcnt lgkmcnt(0)
	ds_read2_b32 v[13:14], v7 offset0:80 offset1:164
	v_add_u32_e32 v7, 0x600, v54
	ds_read2_b32 v[46:47], v54 offset1:56
	ds_read2_b32 v[11:12], v7 offset0:92 offset1:148
	ds_read2_b32 v[48:49], v54 offset0:112 offset1:168
	v_add_u32_e32 v7, 0x800, v54
	v_add_u32_e32 v8, 0x200, v54
	ds_read2_b32 v[9:10], v7 offset0:76 offset1:132
	ds_read2_b32 v[50:51], v8 offset0:96 offset1:152
	;; [unrolled: 1-line block ×3, first 2 shown]
	s_and_saveexec_b64 s[4:5], vcc
	s_cbranch_execz .LBB0_19
; %bb.18:
	ds_read_b32 v5, v54 offset:1568
	ds_read_b32 v6, v54 offset:3248
.LBB0_19:
	s_or_b64 exec, exec, s[4:5]
	v_sub_f32_e32 v58, v19, v31
	v_sub_f32_e32 v16, v21, v45
	v_fma_f32 v57, v19, 2.0, -v58
	v_sub_f32_e32 v40, v23, v39
	v_sub_f32_e32 v42, v25, v41
	;; [unrolled: 1-line block ×6, first 2 shown]
	v_fma_f32 v15, v21, 2.0, -v16
	v_fma_f32 v39, v23, 2.0, -v40
	;; [unrolled: 1-line block ×7, first 2 shown]
	s_waitcnt lgkmcnt(0)
	; wave barrier
	s_waitcnt lgkmcnt(0)
	ds_write_b64 v18, v[57:58]
	ds_write_b64 v22, v[39:40]
	;; [unrolled: 1-line block ×7, first 2 shown]
	s_and_saveexec_b64 s[4:5], vcc
	s_cbranch_execz .LBB0_21
; %bb.20:
	ds_write_b64 v20, v[15:16]
.LBB0_21:
	s_or_b64 exec, exec, s[4:5]
	v_add_u32_e32 v17, 0x400, v54
	v_add_u32_e32 v21, 0x600, v54
	;; [unrolled: 1-line block ×4, first 2 shown]
	s_waitcnt lgkmcnt(0)
	; wave barrier
	s_waitcnt lgkmcnt(0)
	ds_read2_b32 v[19:20], v54 offset1:56
	ds_read2_b32 v[17:18], v17 offset0:80 offset1:164
	ds_read2_b32 v[29:30], v21 offset0:92 offset1:148
	;; [unrolled: 1-line block ×6, first 2 shown]
	v_lshlrev_b32_e32 v57, 1, v52
	v_lshlrev_b32_e32 v58, 1, v0
	;; [unrolled: 1-line block ×7, first 2 shown]
	s_and_saveexec_b64 s[4:5], vcc
	s_cbranch_execz .LBB0_23
; %bb.22:
	ds_read_b32 v15, v54 offset:1568
	ds_read_b32 v16, v54 offset:3248
.LBB0_23:
	s_or_b64 exec, exec, s[4:5]
	v_and_b32_e32 v64, 1, v52
	v_lshlrev_b32_e32 v31, 3, v64
	global_load_dwordx2 v[39:40], v31, s[8:9]
	s_movk_i32 s4, 0x7c
	s_waitcnt lgkmcnt(0)
	; wave barrier
	s_waitcnt lgkmcnt(0)
	s_movk_i32 s5, 0x2fc
	s_waitcnt vmcnt(0)
	v_mul_f32_e32 v38, v26, v40
	v_mul_f32_e32 v31, v18, v40
	v_fmac_f32_e32 v38, v8, v39
	v_fmac_f32_e32 v31, v14, v39
	v_sub_f32_e32 v38, v13, v38
	v_mul_f32_e32 v35, v27, v40
	v_sub_f32_e32 v31, v46, v31
	v_fma_f32 v68, v13, 2.0, -v38
	v_and_or_b32 v13, v57, s4, v64
	v_fmac_f32_e32 v35, v9, v39
	v_mul_f32_e32 v36, v28, v40
	v_fma_f32 v42, v46, 2.0, -v31
	v_lshl_add_u32 v13, v13, 2, 0
	s_movk_i32 s4, 0xfc
	v_mul_f32_e32 v34, v30, v40
	v_fmac_f32_e32 v36, v10, v39
	v_mul_f32_e32 v37, v25, v40
	v_sub_f32_e32 v35, v49, v35
	ds_write2_b32 v13, v42, v31 offset1:2
	v_and_or_b32 v31, v58, s4, v64
	s_movk_i32 s4, 0x1fc
	v_fmac_f32_e32 v34, v12, v39
	v_fmac_f32_e32 v37, v7, v39
	v_fma_f32 v45, v49, 2.0, -v35
	v_sub_f32_e32 v36, v50, v36
	v_lshl_add_u32 v49, v31, 2, 0
	v_and_or_b32 v31, v59, s4, v64
	v_mul_f32_e32 v33, v29, v40
	v_sub_f32_e32 v34, v48, v34
	v_fma_f32 v46, v50, 2.0, -v36
	v_sub_f32_e32 v37, v51, v37
	v_lshl_add_u32 v50, v31, 2, 0
	v_and_or_b32 v31, v61, s4, v64
	s_movk_i32 s4, 0x3fc
	v_fmac_f32_e32 v33, v11, v39
	v_mul_f32_e32 v41, v16, v40
	v_fma_f32 v44, v48, 2.0, -v34
	v_fma_f32 v48, v51, 2.0, -v37
	v_lshl_add_u32 v51, v31, 2, 0
	v_and_or_b32 v31, v62, s4, v64
	v_fmac_f32_e32 v41, v6, v39
	v_sub_f32_e32 v33, v47, v33
	v_lshl_add_u32 v65, v31, 2, 0
	v_and_or_b32 v31, v63, s5, v64
	v_fma_f32 v43, v47, 2.0, -v33
	v_sub_f32_e32 v47, v5, v41
	v_lshl_add_u32 v66, v31, 2, 0
	v_and_or_b32 v31, v60, s4, v64
	v_fma_f32 v5, v5, 2.0, -v47
	ds_write2_b32 v49, v43, v33 offset1:2
	ds_write2_b32 v50, v44, v34 offset1:2
	;; [unrolled: 1-line block ×5, first 2 shown]
	v_lshl_add_u32 v67, v31, 2, 0
	v_lshlrev_b32_e32 v48, 1, v32
	ds_write2_b32 v67, v68, v38 offset1:2
	s_and_saveexec_b64 s[4:5], vcc
	s_cbranch_execz .LBB0_25
; %bb.24:
	s_movk_i32 s6, 0x37c
	v_and_or_b32 v31, v48, s6, v64
	v_lshl_add_u32 v31, v31, 2, 0
	ds_write2_b32 v31, v5, v47 offset1:2
.LBB0_25:
	s_or_b64 exec, exec, s[4:5]
	v_add_u32_e32 v31, 0x400, v54
	s_waitcnt lgkmcnt(0)
	; wave barrier
	s_waitcnt lgkmcnt(0)
	ds_read2_b32 v[37:38], v31 offset0:80 offset1:164
	v_add_u32_e32 v31, 0x600, v54
	ds_read2_b32 v[41:42], v54 offset1:56
	ds_read2_b32 v[35:36], v31 offset0:92 offset1:148
	ds_read2_b32 v[43:44], v54 offset0:112 offset1:168
	v_add_u32_e32 v31, 0x800, v54
	v_add_u32_e32 v32, 0x200, v54
	ds_read2_b32 v[33:34], v31 offset0:76 offset1:132
	ds_read2_b32 v[45:46], v32 offset0:96 offset1:152
	;; [unrolled: 1-line block ×3, first 2 shown]
	s_and_saveexec_b64 s[4:5], vcc
	s_cbranch_execz .LBB0_27
; %bb.26:
	ds_read_b32 v5, v54 offset:1568
	ds_read_b32 v47, v54 offset:3248
.LBB0_27:
	s_or_b64 exec, exec, s[4:5]
	v_mul_f32_e32 v14, v14, v40
	v_mul_f32_e32 v12, v12, v40
	;; [unrolled: 1-line block ×3, first 2 shown]
	v_fma_f32 v14, v18, v39, -v14
	v_fma_f32 v12, v30, v39, -v12
	;; [unrolled: 1-line block ×3, first 2 shown]
	v_mul_f32_e32 v6, v6, v40
	v_mul_f32_e32 v11, v11, v40
	;; [unrolled: 1-line block ×5, first 2 shown]
	v_fma_f32 v6, v16, v39, -v6
	v_sub_f32_e32 v14, v19, v14
	v_sub_f32_e32 v12, v21, v12
	;; [unrolled: 1-line block ×3, first 2 shown]
	v_fma_f32 v11, v29, v39, -v11
	v_fma_f32 v9, v27, v39, -v9
	;; [unrolled: 1-line block ×4, first 2 shown]
	v_fma_f32 v16, v19, 2.0, -v14
	v_fma_f32 v19, v21, 2.0, -v12
	;; [unrolled: 1-line block ×3, first 2 shown]
	v_sub_f32_e32 v23, v15, v6
	v_sub_f32_e32 v11, v20, v11
	;; [unrolled: 1-line block ×5, first 2 shown]
	v_fma_f32 v25, v15, 2.0, -v23
	v_fma_f32 v18, v20, 2.0, -v11
	;; [unrolled: 1-line block ×5, first 2 shown]
	s_waitcnt lgkmcnt(0)
	; wave barrier
	s_waitcnt lgkmcnt(0)
	ds_write2_b32 v13, v16, v14 offset1:2
	ds_write2_b32 v49, v18, v11 offset1:2
	ds_write2_b32 v50, v19, v12 offset1:2
	ds_write2_b32 v51, v20, v9 offset1:2
	ds_write2_b32 v65, v21, v10 offset1:2
	ds_write2_b32 v66, v22, v7 offset1:2
	ds_write2_b32 v67, v17, v8 offset1:2
	s_and_saveexec_b64 s[4:5], vcc
	s_cbranch_execz .LBB0_29
; %bb.28:
	s_movk_i32 s6, 0x37c
	v_and_or_b32 v6, v48, s6, v64
	v_lshl_add_u32 v6, v6, 2, 0
	ds_write2_b32 v6, v25, v23 offset1:2
.LBB0_29:
	s_or_b64 exec, exec, s[4:5]
	v_add_u32_e32 v6, 0x400, v54
	s_waitcnt lgkmcnt(0)
	; wave barrier
	s_waitcnt lgkmcnt(0)
	ds_read2_b32 v[7:8], v6 offset0:80 offset1:164
	v_add_u32_e32 v6, 0x600, v54
	ds_read2_b32 v[9:10], v54 offset1:56
	ds_read2_b32 v[19:20], v6 offset0:92 offset1:148
	ds_read2_b32 v[11:12], v54 offset0:112 offset1:168
	v_add_u32_e32 v6, 0x800, v54
	v_add_u32_e32 v13, 0x200, v54
	ds_read2_b32 v[17:18], v6 offset0:76 offset1:132
	ds_read2_b32 v[13:14], v13 offset0:96 offset1:152
	;; [unrolled: 1-line block ×3, first 2 shown]
	s_and_saveexec_b64 s[4:5], vcc
	s_cbranch_execz .LBB0_31
; %bb.30:
	ds_read_b32 v25, v54 offset:1568
	ds_read_b32 v23, v54 offset:3248
.LBB0_31:
	s_or_b64 exec, exec, s[4:5]
	v_and_b32_e32 v26, 3, v52
	v_lshlrev_b32_e32 v6, 3, v26
	global_load_dwordx2 v[21:22], v6, s[8:9] offset:16
	s_movk_i32 s4, 0x78
	s_movk_i32 s5, 0xf8
	v_and_or_b32 v6, v57, s4, v26
	s_movk_i32 s6, 0x1f8
	s_movk_i32 s7, 0x3f8
	v_and_or_b32 v24, v58, s5, v26
	v_lshl_add_u32 v27, v6, 2, 0
	s_movk_i32 s10, 0x2f8
	v_and_or_b32 v29, v59, s6, v26
	v_and_or_b32 v49, v60, s7, v26
	v_lshl_add_u32 v28, v24, 2, 0
	v_and_or_b32 v30, v61, s6, v26
	v_and_or_b32 v39, v62, s7, v26
	;; [unrolled: 1-line block ×3, first 2 shown]
	v_lshl_add_u32 v29, v29, 2, 0
	v_lshl_add_u32 v30, v30, 2, 0
	v_lshl_add_u32 v39, v39, 2, 0
	v_lshl_add_u32 v40, v40, 2, 0
	v_lshl_add_u32 v49, v49, 2, 0
	s_waitcnt lgkmcnt(0)
	; wave barrier
	s_waitcnt vmcnt(0) lgkmcnt(0)
	v_mul_f32_e32 v6, v8, v22
	v_mul_f32_e32 v24, v19, v22
	;; [unrolled: 1-line block ×8, first 2 shown]
	v_fmac_f32_e32 v6, v38, v21
	v_fmac_f32_e32 v24, v35, v21
	;; [unrolled: 1-line block ×8, first 2 shown]
	v_sub_f32_e32 v61, v41, v6
	v_sub_f32_e32 v24, v42, v24
	;; [unrolled: 1-line block ×8, first 2 shown]
	v_fma_f32 v41, v41, 2.0, -v61
	v_fma_f32 v42, v42, 2.0, -v24
	;; [unrolled: 1-line block ×7, first 2 shown]
	ds_write2_b32 v27, v41, v61 offset1:4
	ds_write2_b32 v28, v42, v24 offset1:4
	;; [unrolled: 1-line block ×7, first 2 shown]
	s_and_saveexec_b64 s[4:5], vcc
	s_cbranch_execz .LBB0_33
; %bb.32:
	s_movk_i32 s6, 0x378
	v_and_or_b32 v24, v48, s6, v26
	v_lshl_add_u32 v24, v24, 2, 0
	v_fma_f32 v5, v5, 2.0, -v6
	ds_write2_b32 v24, v5, v6 offset1:4
.LBB0_33:
	s_or_b64 exec, exec, s[4:5]
	v_mul_f32_e32 v5, v38, v22
	v_fma_f32 v5, v8, v21, -v5
	v_mul_f32_e32 v8, v35, v22
	v_fma_f32 v8, v19, v21, -v8
	;; [unrolled: 2-line block ×7, first 2 shown]
	v_mul_f32_e32 v20, v47, v22
	v_sub_f32_e32 v45, v7, v16
	v_fma_f32 v20, v23, v21, -v20
	v_sub_f32_e32 v31, v9, v5
	v_sub_f32_e32 v33, v10, v8
	;; [unrolled: 1-line block ×6, first 2 shown]
	v_fma_f32 v46, v7, 2.0, -v45
	v_add_u32_e32 v23, 0x200, v54
	v_add_u32_e32 v7, 0x800, v54
	;; [unrolled: 1-line block ×3, first 2 shown]
	v_fma_f32 v32, v9, 2.0, -v31
	v_fma_f32 v34, v10, 2.0, -v33
	v_fma_f32 v36, v11, 2.0, -v35
	v_fma_f32 v38, v12, 2.0, -v37
	v_fma_f32 v42, v13, 2.0, -v41
	v_fma_f32 v44, v14, 2.0, -v43
	v_sub_f32_e32 v8, v25, v20
	s_waitcnt lgkmcnt(0)
	; wave barrier
	s_waitcnt lgkmcnt(0)
	ds_read2_b32 v[13:14], v54 offset1:56
	ds_read2_b32 v[9:10], v23 offset0:96 offset1:152
	ds_read2_b32 v[21:22], v7 offset0:48 offset1:104
	;; [unrolled: 1-line block ×6, first 2 shown]
	ds_read_b32 v5, v54 offset:3136
	s_waitcnt lgkmcnt(0)
	; wave barrier
	s_waitcnt lgkmcnt(0)
	ds_write2_b32 v27, v32, v31 offset1:4
	ds_write2_b32 v28, v34, v33 offset1:4
	;; [unrolled: 1-line block ×7, first 2 shown]
	s_and_saveexec_b64 s[4:5], vcc
	s_cbranch_execz .LBB0_35
; %bb.34:
	s_movk_i32 s6, 0x378
	v_and_or_b32 v26, v48, s6, v26
	v_fma_f32 v25, v25, 2.0, -v8
	v_lshl_add_u32 v26, v26, 2, 0
	ds_write2_b32 v26, v25, v8 offset1:4
.LBB0_35:
	s_or_b64 exec, exec, s[4:5]
	v_and_b32_e32 v43, 7, v52
	v_lshlrev_b32_e32 v25, 4, v43
	s_waitcnt lgkmcnt(0)
	; wave barrier
	s_waitcnt lgkmcnt(0)
	global_load_dwordx4 v[25:28], v25, s[8:9] offset:48
	ds_read2_b32 v[29:30], v54 offset1:56
	ds_read2_b32 v[31:32], v23 offset0:96 offset1:152
	ds_read2_b32 v[33:34], v7 offset0:48 offset1:104
	ds_read2_b32 v[35:36], v24 offset0:80 offset1:136
	ds_read2_b32 v[37:38], v54 offset0:112 offset1:168
	ds_read2_b32 v[39:40], v7 offset0:160 offset1:216
	ds_read2_b32 v[41:42], v24 offset0:192 offset1:248
	ds_read_b32 v44, v54 offset:3136
	s_waitcnt lgkmcnt(0)
	; wave barrier
	s_waitcnt lgkmcnt(0)
	s_movk_i32 s4, 0xab
	v_mov_b32_e32 v83, 2
	v_cmp_gt_u32_e32 vcc, 8, v52
	s_waitcnt vmcnt(0)
	v_mul_f32_e32 v45, v32, v26
	v_mul_f32_e32 v46, v10, v26
	v_mul_f32_e32 v47, v33, v28
	v_mul_f32_e32 v48, v21, v28
	v_mul_f32_e32 v49, v35, v26
	v_mul_f32_e32 v50, v19, v26
	v_mul_f32_e32 v51, v34, v28
	v_mul_f32_e32 v57, v22, v28
	v_mul_f32_e32 v58, v36, v26
	v_mul_f32_e32 v59, v20, v26
	v_mul_f32_e32 v60, v39, v28
	v_mul_f32_e32 v61, v17, v28
	v_mul_f32_e32 v62, v41, v26
	v_mul_f32_e32 v63, v15, v26
	v_mul_f32_e32 v64, v40, v28
	v_mul_f32_e32 v65, v18, v28
	v_mul_f32_e32 v66, v42, v26
	v_mul_f32_e32 v26, v16, v26
	v_mul_f32_e32 v67, v44, v28
	v_mul_f32_e32 v28, v5, v28
	v_fmac_f32_e32 v45, v10, v25
	v_fma_f32 v10, v32, v25, -v46
	v_fmac_f32_e32 v47, v21, v27
	v_fma_f32 v21, v33, v27, -v48
	;; [unrolled: 2-line block ×4, first 2 shown]
	v_fmac_f32_e32 v58, v20, v25
	v_fmac_f32_e32 v60, v17, v27
	v_fma_f32 v17, v39, v27, -v61
	v_fmac_f32_e32 v64, v18, v27
	v_fma_f32 v18, v40, v27, -v65
	;; [unrolled: 2-line block ×4, first 2 shown]
	v_add_f32_e32 v26, v45, v47
	v_sub_f32_e32 v27, v10, v21
	v_add_f32_e32 v28, v29, v10
	v_add_f32_e32 v10, v10, v21
	v_fma_f32 v20, v36, v25, -v59
	v_fmac_f32_e32 v62, v15, v25
	v_fma_f32 v15, v41, v25, -v63
	v_add_f32_e32 v25, v13, v45
	v_add_f32_e32 v36, v30, v19
	;; [unrolled: 1-line block ×3, first 2 shown]
	v_fma_f32 v13, -0.5, v26, v13
	v_fma_f32 v10, -0.5, v10, v29
	v_sub_f32_e32 v32, v45, v47
	v_sub_f32_e32 v35, v19, v22
	v_add_f32_e32 v19, v19, v22
	v_add_f32_e32 v40, v11, v58
	v_add_f32_e32 v26, v28, v21
	v_add_f32_e32 v28, v36, v22
	v_mov_b32_e32 v22, v13
	v_mov_b32_e32 v29, v10
	v_fma_f32 v11, -0.5, v41, v11
	v_fmac_f32_e32 v13, 0x3f5db3d7, v27
	v_fmac_f32_e32 v10, 0xbf5db3d7, v32
	;; [unrolled: 1-line block ×4, first 2 shown]
	v_sub_f32_e32 v27, v20, v17
	v_mov_b32_e32 v32, v11
	v_add_f32_e32 v34, v49, v51
	v_fmac_f32_e32 v32, 0xbf5db3d7, v27
	v_fmac_f32_e32 v11, 0x3f5db3d7, v27
	v_add_f32_e32 v27, v37, v20
	v_add_f32_e32 v33, v14, v49
	v_fmac_f32_e32 v14, -0.5, v34
	v_add_f32_e32 v27, v27, v17
	v_add_f32_e32 v17, v20, v17
	;; [unrolled: 1-line block ×3, first 2 shown]
	v_mov_b32_e32 v33, v14
	v_fma_f32 v17, -0.5, v17, v37
	v_fmac_f32_e32 v14, 0x3f5db3d7, v35
	v_fmac_f32_e32 v33, 0xbf5db3d7, v35
	v_sub_f32_e32 v20, v58, v60
	v_mov_b32_e32 v35, v17
	v_add_f32_e32 v34, v62, v64
	v_fmac_f32_e32 v35, 0x3f5db3d7, v20
	v_fmac_f32_e32 v17, 0xbf5db3d7, v20
	v_add_f32_e32 v20, v12, v62
	v_fmac_f32_e32 v12, -0.5, v34
	v_sub_f32_e32 v34, v15, v18
	v_mov_b32_e32 v37, v12
	v_fmac_f32_e32 v37, 0xbf5db3d7, v34
	v_fmac_f32_e32 v12, 0x3f5db3d7, v34
	v_add_f32_e32 v34, v38, v15
	v_add_f32_e32 v15, v15, v18
	v_fmac_f32_e32 v38, -0.5, v15
	v_fmac_f32_e32 v30, -0.5, v19
	v_add_f32_e32 v44, v34, v18
	v_sub_f32_e32 v15, v62, v64
	v_mov_b32_e32 v18, v38
	v_add_f32_e32 v34, v66, v67
	v_sub_f32_e32 v39, v49, v51
	v_mov_b32_e32 v36, v30
	v_fmac_f32_e32 v18, 0x3f5db3d7, v15
	v_fmac_f32_e32 v38, 0xbf5db3d7, v15
	v_add_f32_e32 v15, v9, v66
	v_fmac_f32_e32 v9, -0.5, v34
	v_fmac_f32_e32 v30, 0xbf5db3d7, v39
	v_fmac_f32_e32 v36, 0x3f5db3d7, v39
	v_sub_f32_e32 v34, v16, v5
	v_mov_b32_e32 v39, v9
	v_fmac_f32_e32 v39, 0xbf5db3d7, v34
	v_fmac_f32_e32 v9, 0x3f5db3d7, v34
	v_add_f32_e32 v34, v31, v16
	v_add_f32_e32 v25, v25, v47
	;; [unrolled: 1-line block ×4, first 2 shown]
	v_fmac_f32_e32 v31, -0.5, v5
	v_sub_f32_e32 v5, v66, v67
	v_mov_b32_e32 v16, v31
	v_fmac_f32_e32 v16, 0x3f5db3d7, v5
	v_fmac_f32_e32 v31, 0xbf5db3d7, v5
	v_lshrrev_b32_e32 v5, 3, v52
	v_mul_u32_u24_e32 v5, 24, v5
	v_or_b32_e32 v5, v5, v43
	v_lshl_add_u32 v5, v5, 2, 0
	ds_write2_b32 v5, v25, v22 offset1:8
	ds_write_b32 v5, v13 offset:64
	v_lshrrev_b32_e32 v13, 3, v0
	v_mul_u32_u24_e32 v13, 24, v13
	v_or_b32_e32 v13, v13, v43
	v_lshl_add_u32 v13, v13, 2, 0
	ds_write2_b32 v13, v21, v33 offset1:8
	ds_write_b32 v13, v14 offset:64
	v_lshrrev_b32_e32 v14, 3, v53
	v_mul_u32_u24_e32 v14, 24, v14
	v_or_b32_e32 v14, v14, v43
	v_add_f32_e32 v19, v40, v60
	v_lshl_add_u32 v14, v14, 2, 0
	ds_write2_b32 v14, v19, v32 offset1:8
	ds_write_b32 v14, v11 offset:64
	v_lshrrev_b32_e32 v11, 3, v55
	v_mul_u32_u24_e32 v11, 24, v11
	v_or_b32_e32 v11, v11, v43
	v_add_f32_e32 v20, v20, v64
	;; [unrolled: 7-line block ×3, first 2 shown]
	v_lshl_add_u32 v12, v12, 2, 0
	ds_write2_b32 v12, v15, v39 offset1:8
	ds_write_b32 v12, v9 offset:64
	s_waitcnt lgkmcnt(0)
	; wave barrier
	s_waitcnt lgkmcnt(0)
	ds_read2_b32 v[21:22], v54 offset1:56
	ds_read2_b32 v[45:46], v54 offset0:112 offset1:168
	ds_read2_b32 v[33:34], v24 offset0:80 offset1:136
	;; [unrolled: 1-line block ×6, first 2 shown]
	ds_read_b32 v78, v54 offset:3136
	s_waitcnt lgkmcnt(0)
	; wave barrier
	s_waitcnt lgkmcnt(0)
	ds_write2_b32 v5, v26, v29 offset1:8
	ds_write_b32 v5, v10 offset:64
	ds_write2_b32 v13, v28, v36 offset1:8
	ds_write_b32 v13, v30 offset:64
	;; [unrolled: 2-line block ×5, first 2 shown]
	v_mul_lo_u16_sdwa v5, v52, s4 dst_sel:DWORD dst_unused:UNUSED_PAD src0_sel:BYTE_0 src1_sel:DWORD
	v_lshrrev_b16_e32 v79, 12, v5
	v_mul_lo_u16_e32 v5, 24, v79
	v_sub_u16_e32 v5, v52, v5
	v_mov_b32_e32 v13, 5
	v_lshlrev_b32_sdwa v14, v13, v5 dst_sel:DWORD dst_unused:UNUSED_PAD src0_sel:DWORD src1_sel:BYTE_0
	s_waitcnt lgkmcnt(0)
	; wave barrier
	s_waitcnt lgkmcnt(0)
	global_load_dwordx4 v[9:12], v14, s[8:9] offset:176
	global_load_dwordx4 v[17:20], v14, s[8:9] offset:192
	v_mul_lo_u16_sdwa v14, v0, s4 dst_sel:DWORD dst_unused:UNUSED_PAD src0_sel:BYTE_0 src1_sel:DWORD
	v_lshrrev_b16_e32 v80, 12, v14
	v_mul_lo_u16_e32 v14, 24, v80
	v_sub_u16_e32 v35, v0, v14
	v_lshlrev_b32_sdwa v14, v13, v35 dst_sel:DWORD dst_unused:UNUSED_PAD src0_sel:DWORD src1_sel:BYTE_0
	global_load_dwordx4 v[25:28], v14, s[8:9] offset:176
	global_load_dwordx4 v[29:32], v14, s[8:9] offset:192
	v_mul_lo_u16_sdwa v14, v53, s4 dst_sel:DWORD dst_unused:UNUSED_PAD src0_sel:BYTE_0 src1_sel:DWORD
	v_lshrrev_b16_e32 v81, 12, v14
	v_mul_lo_u16_e32 v14, 24, v81
	v_sub_u16_e32 v38, v53, v14
	v_lshlrev_b32_sdwa v13, v13, v38 dst_sel:DWORD dst_unused:UNUSED_PAD src0_sel:DWORD src1_sel:BYTE_0
	global_load_dwordx4 v[58:61], v13, s[8:9] offset:176
	global_load_dwordx4 v[62:65], v13, s[8:9] offset:192
	v_lshlrev_b32_sdwa v84, v83, v5 dst_sel:DWORD dst_unused:UNUSED_PAD src0_sel:DWORD src1_sel:BYTE_0
	ds_read2_b32 v[15:16], v54 offset1:56
	ds_read2_b32 v[13:14], v54 offset0:112 offset1:168
	ds_read2_b32 v[36:37], v24 offset0:80 offset1:136
	;; [unrolled: 1-line block ×6, first 2 shown]
	ds_read_b32 v82, v54 offset:3136
	s_waitcnt lgkmcnt(0)
	; wave barrier
	s_waitcnt vmcnt(5) lgkmcnt(0)
	v_mul_f32_e32 v5, v46, v10
	v_fma_f32 v44, v14, v9, -v5
	v_mul_f32_e32 v5, v33, v12
	v_fma_f32 v47, v36, v11, -v5
	s_waitcnt vmcnt(4)
	v_mul_f32_e32 v5, v42, v18
	v_fma_f32 v48, v71, v17, -v5
	v_mul_f32_e32 v5, v39, v20
	v_fma_f32 v50, v72, v19, -v5
	s_waitcnt vmcnt(3)
	v_mul_f32_e32 v5, v66, v26
	v_mul_f32_e32 v55, v36, v12
	v_fma_f32 v36, v74, v25, -v5
	v_mul_f32_e32 v5, v34, v28
	v_mul_f32_e32 v57, v72, v20
	;; [unrolled: 1-line block ×3, first 2 shown]
	v_fma_f32 v37, v37, v27, -v5
	s_waitcnt vmcnt(2)
	v_mul_f32_e32 v5, v68, v30
	v_fmac_f32_e32 v57, v39, v19
	v_fma_f32 v39, v76, v29, -v5
	v_mul_f32_e32 v49, v73, v32
	v_mul_f32_e32 v5, v40, v32
	v_fmac_f32_e32 v49, v40, v31
	v_fma_f32 v40, v73, v31, -v5
	s_waitcnt vmcnt(1)
	v_mul_f32_e32 v5, v67, v59
	v_mul_f32_e32 v51, v14, v10
	v_fma_f32 v14, v75, v58, -v5
	v_mul_f32_e32 v5, v41, v61
	v_fma_f32 v31, v70, v60, -v5
	s_waitcnt vmcnt(0)
	v_mul_f32_e32 v5, v69, v63
	v_fmac_f32_e32 v51, v46, v9
	v_fma_f32 v32, v77, v62, -v5
	v_mul_f32_e32 v5, v78, v65
	v_fmac_f32_e32 v55, v33, v11
	v_mul_f32_e32 v56, v71, v18
	v_fma_f32 v33, v82, v64, -v5
	v_add_f32_e32 v5, v21, v51
	v_fmac_f32_e32 v56, v42, v17
	v_add_f32_e32 v5, v5, v55
	v_add_f32_e32 v5, v5, v56
	;; [unrolled: 1-line block ×4, first 2 shown]
	v_fma_f32 v12, -0.5, v5, v21
	v_sub_f32_e32 v5, v44, v50
	v_mov_b32_e32 v17, v12
	v_fmac_f32_e32 v17, 0xbf737871, v5
	v_sub_f32_e32 v18, v47, v48
	v_sub_f32_e32 v19, v51, v55
	;; [unrolled: 1-line block ×3, first 2 shown]
	v_fmac_f32_e32 v12, 0x3f737871, v5
	v_fmac_f32_e32 v17, 0xbf167918, v18
	v_add_f32_e32 v19, v19, v20
	v_fmac_f32_e32 v12, 0x3f167918, v18
	v_fmac_f32_e32 v17, 0x3e9e377a, v19
	;; [unrolled: 1-line block ×3, first 2 shown]
	v_add_f32_e32 v19, v51, v57
	v_fma_f32 v19, -0.5, v19, v21
	v_mul_f32_e32 v42, v74, v26
	v_mov_b32_e32 v20, v19
	v_fmac_f32_e32 v42, v66, v25
	v_fmac_f32_e32 v20, 0x3f737871, v18
	;; [unrolled: 1-line block ×4, first 2 shown]
	v_mul_f32_e32 v46, v76, v30
	v_fmac_f32_e32 v20, 0xbf167918, v5
	v_fmac_f32_e32 v19, 0x3f167918, v5
	v_add_f32_e32 v5, v22, v42
	v_fmac_f32_e32 v46, v68, v29
	v_add_f32_e32 v5, v5, v43
	v_sub_f32_e32 v21, v55, v51
	v_sub_f32_e32 v25, v56, v57
	v_add_f32_e32 v5, v5, v46
	v_add_f32_e32 v21, v21, v25
	;; [unrolled: 1-line block ×4, first 2 shown]
	v_fmac_f32_e32 v20, 0x3e9e377a, v21
	v_fmac_f32_e32 v19, 0x3e9e377a, v21
	v_fma_f32 v21, -0.5, v5, v22
	v_sub_f32_e32 v5, v36, v40
	v_mov_b32_e32 v25, v21
	v_fmac_f32_e32 v25, 0xbf737871, v5
	v_sub_f32_e32 v26, v37, v39
	v_sub_f32_e32 v27, v42, v43
	;; [unrolled: 1-line block ×3, first 2 shown]
	v_fmac_f32_e32 v21, 0x3f737871, v5
	v_fmac_f32_e32 v25, 0xbf167918, v26
	v_add_f32_e32 v27, v27, v28
	v_fmac_f32_e32 v21, 0x3f167918, v26
	v_fmac_f32_e32 v25, 0x3e9e377a, v27
	;; [unrolled: 1-line block ×3, first 2 shown]
	v_add_f32_e32 v27, v42, v49
	v_fmac_f32_e32 v22, -0.5, v27
	v_mul_f32_e32 v34, v75, v59
	v_mov_b32_e32 v27, v22
	v_lshlrev_b32_sdwa v9, v83, v35 dst_sel:DWORD dst_unused:UNUSED_PAD src0_sel:DWORD src1_sel:BYTE_0
	v_fmac_f32_e32 v34, v67, v58
	v_mul_f32_e32 v35, v70, v61
	v_fmac_f32_e32 v27, 0x3f737871, v26
	v_fmac_f32_e32 v22, 0xbf737871, v26
	v_lshlrev_b32_sdwa v10, v83, v38 dst_sel:DWORD dst_unused:UNUSED_PAD src0_sel:DWORD src1_sel:BYTE_0
	v_fmac_f32_e32 v35, v41, v60
	v_mul_f32_e32 v38, v77, v63
	v_fmac_f32_e32 v27, 0xbf167918, v5
	v_fmac_f32_e32 v22, 0x3f167918, v5
	v_add_f32_e32 v5, v45, v34
	v_fmac_f32_e32 v38, v69, v62
	v_mul_f32_e32 v41, v82, v65
	v_add_f32_e32 v5, v5, v35
	v_fmac_f32_e32 v41, v78, v64
	v_add_f32_e32 v5, v5, v38
	v_sub_f32_e32 v28, v43, v42
	v_sub_f32_e32 v29, v46, v49
	v_add_f32_e32 v26, v5, v41
	v_add_f32_e32 v5, v35, v38
	;; [unrolled: 1-line block ×3, first 2 shown]
	v_fma_f32 v5, -0.5, v5, v45
	v_fmac_f32_e32 v27, 0x3e9e377a, v28
	v_fmac_f32_e32 v22, 0x3e9e377a, v28
	v_sub_f32_e32 v28, v14, v33
	v_mov_b32_e32 v29, v5
	v_fmac_f32_e32 v29, 0xbf737871, v28
	v_sub_f32_e32 v30, v31, v32
	v_sub_f32_e32 v58, v34, v35
	;; [unrolled: 1-line block ×3, first 2 shown]
	v_fmac_f32_e32 v5, 0x3f737871, v28
	v_fmac_f32_e32 v29, 0xbf167918, v30
	v_add_f32_e32 v58, v58, v59
	v_fmac_f32_e32 v5, 0x3f167918, v30
	v_fmac_f32_e32 v29, 0x3e9e377a, v58
	;; [unrolled: 1-line block ×3, first 2 shown]
	v_add_f32_e32 v58, v34, v41
	v_fmac_f32_e32 v45, -0.5, v58
	v_mov_b32_e32 v61, v45
	v_fmac_f32_e32 v61, 0x3f737871, v30
	v_sub_f32_e32 v58, v35, v34
	v_sub_f32_e32 v59, v38, v41
	v_fmac_f32_e32 v45, 0xbf737871, v30
	v_fmac_f32_e32 v61, 0xbf167918, v28
	v_add_f32_e32 v58, v58, v59
	v_fmac_f32_e32 v45, 0x3f167918, v28
	v_mul_u32_u24_e32 v28, 0x1e0, v79
	v_fmac_f32_e32 v61, 0x3e9e377a, v58
	v_fmac_f32_e32 v45, 0x3e9e377a, v58
	v_add3_u32 v58, 0, v28, v84
	ds_write2_b32 v58, v11, v17 offset1:24
	ds_write2_b32 v58, v20, v19 offset0:48 offset1:72
	ds_write_b32 v58, v12 offset:384
	v_mul_u32_u24_e32 v11, 0x1e0, v80
	v_add3_u32 v59, 0, v11, v9
	v_mul_u32_u24_e32 v9, 0x1e0, v81
	v_add3_u32 v60, 0, v9, v10
	ds_write2_b32 v59, v18, v25 offset1:24
	ds_write2_b32 v59, v27, v22 offset0:48 offset1:72
	ds_write_b32 v59, v21 offset:384
	ds_write2_b32 v60, v26, v29 offset1:24
	ds_write2_b32 v60, v61, v45 offset0:48 offset1:72
	ds_write_b32 v60, v5 offset:384
	s_waitcnt lgkmcnt(0)
	; wave barrier
	s_waitcnt lgkmcnt(0)
	ds_read2_b32 v[17:18], v54 offset1:56
	ds_read2_b32 v[27:28], v54 offset0:120 offset1:176
	ds_read2_b32 v[19:20], v23 offset0:112 offset1:168
	;; [unrolled: 1-line block ×3, first 2 shown]
	v_add_u32_e32 v61, 0x600, v54
	v_add_u32_e32 v62, 0xa00, v54
	ds_read2_b32 v[25:26], v61 offset0:96 offset1:152
	ds_read2_b32 v[21:22], v7 offset0:88 offset1:144
	;; [unrolled: 1-line block ×3, first 2 shown]
                                        ; implicit-def: $vgpr9
                                        ; implicit-def: $vgpr11
                                        ; implicit-def: $vgpr45
	s_and_saveexec_b64 s[4:5], vcc
	s_cbranch_execz .LBB0_37
; %bb.36:
	v_add_u32_e32 v7, 0x400, v54
	ds_read2_b32 v[9:10], v7 offset0:96 offset1:216
	v_add_u32_e32 v7, 0x800, v54
	ds_read2_b32 v[5:6], v54 offset0:112 offset1:232
	ds_read2_b32 v[11:12], v7 offset0:80 offset1:200
	ds_read_b32 v45, v54 offset:3328
.LBB0_37:
	s_or_b64 exec, exec, s[4:5]
	v_add_f32_e32 v7, v15, v44
	v_add_f32_e32 v7, v7, v47
	;; [unrolled: 1-line block ×5, first 2 shown]
	v_fma_f32 v64, -0.5, v7, v15
	v_sub_f32_e32 v7, v51, v57
	v_mov_b32_e32 v51, v64
	v_fmac_f32_e32 v51, 0x3f737871, v7
	v_sub_f32_e32 v55, v55, v56
	v_sub_f32_e32 v56, v44, v47
	;; [unrolled: 1-line block ×3, first 2 shown]
	v_fmac_f32_e32 v64, 0xbf737871, v7
	v_fmac_f32_e32 v51, 0x3f167918, v55
	v_add_f32_e32 v56, v56, v57
	v_fmac_f32_e32 v64, 0xbf167918, v55
	v_fmac_f32_e32 v51, 0x3e9e377a, v56
	;; [unrolled: 1-line block ×3, first 2 shown]
	v_add_f32_e32 v56, v44, v50
	v_fma_f32 v15, -0.5, v56, v15
	v_mov_b32_e32 v56, v15
	v_fmac_f32_e32 v56, 0xbf737871, v55
	v_fmac_f32_e32 v15, 0x3f737871, v55
	;; [unrolled: 1-line block ×4, first 2 shown]
	v_add_f32_e32 v7, v16, v36
	v_sub_f32_e32 v44, v47, v44
	v_sub_f32_e32 v47, v48, v50
	v_add_f32_e32 v7, v7, v37
	v_add_f32_e32 v44, v44, v47
	;; [unrolled: 1-line block ×3, first 2 shown]
	v_fmac_f32_e32 v56, 0x3e9e377a, v44
	v_fmac_f32_e32 v15, 0x3e9e377a, v44
	v_add_f32_e32 v44, v7, v40
	v_add_f32_e32 v7, v37, v39
	v_fma_f32 v47, -0.5, v7, v16
	v_sub_f32_e32 v7, v42, v49
	v_mov_b32_e32 v42, v47
	v_fmac_f32_e32 v42, 0x3f737871, v7
	v_sub_f32_e32 v43, v43, v46
	v_sub_f32_e32 v46, v36, v37
	;; [unrolled: 1-line block ×3, first 2 shown]
	v_fmac_f32_e32 v47, 0xbf737871, v7
	v_fmac_f32_e32 v42, 0x3f167918, v43
	v_add_f32_e32 v46, v46, v48
	v_fmac_f32_e32 v47, 0xbf167918, v43
	v_fmac_f32_e32 v42, 0x3e9e377a, v46
	v_fmac_f32_e32 v47, 0x3e9e377a, v46
	v_add_f32_e32 v46, v36, v40
	v_fmac_f32_e32 v16, -0.5, v46
	v_mov_b32_e32 v46, v16
	v_fmac_f32_e32 v46, 0xbf737871, v43
	v_fmac_f32_e32 v16, 0x3f737871, v43
	v_fmac_f32_e32 v46, 0x3f167918, v7
	v_fmac_f32_e32 v16, 0xbf167918, v7
	v_add_f32_e32 v7, v13, v14
	v_sub_f32_e32 v36, v37, v36
	v_sub_f32_e32 v37, v39, v40
	v_add_f32_e32 v7, v7, v31
	v_add_f32_e32 v36, v36, v37
	;; [unrolled: 1-line block ×3, first 2 shown]
	v_fmac_f32_e32 v46, 0x3e9e377a, v36
	v_fmac_f32_e32 v16, 0x3e9e377a, v36
	v_add_f32_e32 v36, v7, v33
	v_add_f32_e32 v7, v31, v32
	v_fma_f32 v7, -0.5, v7, v13
	v_sub_f32_e32 v34, v34, v41
	v_mov_b32_e32 v37, v7
	v_fmac_f32_e32 v37, 0x3f737871, v34
	v_sub_f32_e32 v35, v35, v38
	v_sub_f32_e32 v38, v14, v31
	;; [unrolled: 1-line block ×3, first 2 shown]
	v_fmac_f32_e32 v7, 0xbf737871, v34
	v_fmac_f32_e32 v37, 0x3f167918, v35
	v_add_f32_e32 v38, v38, v39
	v_fmac_f32_e32 v7, 0xbf167918, v35
	v_fmac_f32_e32 v37, 0x3e9e377a, v38
	;; [unrolled: 1-line block ×3, first 2 shown]
	v_add_f32_e32 v38, v14, v33
	v_fmac_f32_e32 v13, -0.5, v38
	v_mov_b32_e32 v38, v13
	v_sub_f32_e32 v14, v31, v14
	v_sub_f32_e32 v31, v32, v33
	v_fmac_f32_e32 v13, 0x3f737871, v35
	v_fmac_f32_e32 v38, 0xbf737871, v35
	v_add_f32_e32 v14, v14, v31
	v_fmac_f32_e32 v13, 0xbf167918, v34
	v_fmac_f32_e32 v38, 0x3f167918, v34
	;; [unrolled: 1-line block ×4, first 2 shown]
	s_waitcnt lgkmcnt(0)
	; wave barrier
	s_waitcnt lgkmcnt(0)
	ds_write2_b32 v58, v63, v51 offset1:24
	ds_write2_b32 v58, v56, v15 offset0:48 offset1:72
	ds_write_b32 v58, v64 offset:384
	ds_write2_b32 v59, v44, v42 offset1:24
	ds_write2_b32 v59, v46, v16 offset0:48 offset1:72
	ds_write_b32 v59, v47 offset:384
	;; [unrolled: 3-line block ×3, first 2 shown]
	v_add_u32_e32 v13, 0x200, v54
	v_add_u32_e32 v14, 0x400, v54
	;; [unrolled: 1-line block ×3, first 2 shown]
	s_waitcnt lgkmcnt(0)
	; wave barrier
	s_waitcnt lgkmcnt(0)
	ds_read2_b32 v[31:32], v54 offset1:56
	ds_read2_b32 v[37:38], v54 offset0:120 offset1:176
	ds_read2_b32 v[33:34], v13 offset0:112 offset1:168
	;; [unrolled: 1-line block ×6, first 2 shown]
                                        ; implicit-def: $vgpr13
                                        ; implicit-def: $vgpr15
                                        ; implicit-def: $vgpr46
	s_and_saveexec_b64 s[4:5], vcc
	s_cbranch_execz .LBB0_39
; %bb.38:
	ds_read2_b32 v[7:8], v54 offset0:112 offset1:232
	ds_read2_b32 v[13:14], v14 offset0:96 offset1:216
	;; [unrolled: 1-line block ×3, first 2 shown]
	ds_read_b32 v46, v54 offset:3328
.LBB0_39:
	s_or_b64 exec, exec, s[4:5]
	s_and_saveexec_b64 s[4:5], s[0:1]
	s_cbranch_execz .LBB0_42
; %bb.40:
	v_mul_u32_u24_e32 v0, 6, v0
	v_lshlrev_b32_e32 v0, 3, v0
	global_load_dwordx4 v[47:50], v0, s[8:9] offset:944
	global_load_dwordx4 v[54:57], v0, s[8:9] offset:976
	global_load_dwordx4 v[58:61], v0, s[8:9] offset:960
	v_mul_u32_u24_e32 v62, 6, v52
	v_lshlrev_b32_e32 v74, 3, v62
	global_load_dwordx4 v[62:65], v74, s[8:9] offset:944
	global_load_dwordx4 v[66:69], v74, s[8:9] offset:976
	;; [unrolled: 1-line block ×3, first 2 shown]
	v_mul_lo_u32 v0, s3, v3
	v_mul_lo_u32 v51, s2, v4
	v_mad_u64_u32 v[3:4], s[0:1], s2, v3, 0
	s_mov_b32 s3, 0xbf5ff5aa
	s_mov_b32 s2, 0x3eae86e6
	v_add3_u32 v4, v4, v51, v0
	s_mov_b32 s4, 0xbf3bfb3b
	s_mov_b32 s5, 0x3f3bfb3b
	;; [unrolled: 1-line block ×3, first 2 shown]
	s_movk_i32 s7, 0x78
	v_lshlrev_b64 v[3:4], 3, v[3:4]
	v_add_co_u32_e64 v3, s[0:1], s14, v3
	s_waitcnt vmcnt(5) lgkmcnt(5)
	v_mul_f32_e32 v0, v38, v48
	s_waitcnt vmcnt(4) lgkmcnt(0)
	v_mul_f32_e32 v51, v44, v57
	v_mul_f32_e32 v76, v34, v50
	v_mul_f32_e32 v77, v36, v55
	v_mul_f32_e32 v57, v30, v57
	v_mul_f32_e32 v48, v28, v48
	v_mul_f32_e32 v55, v22, v55
	v_mul_f32_e32 v50, v20, v50
	s_waitcnt vmcnt(3)
	v_mul_f32_e32 v74, v40, v61
	v_mul_f32_e32 v75, v42, v59
	;; [unrolled: 1-line block ×4, first 2 shown]
	v_fmac_f32_e32 v0, v28, v47
	v_fmac_f32_e32 v51, v30, v56
	;; [unrolled: 1-line block ×4, first 2 shown]
	v_fma_f32 v20, v44, v56, -v57
	v_fma_f32 v22, v38, v47, -v48
	;; [unrolled: 1-line block ×4, first 2 shown]
	v_fmac_f32_e32 v74, v26, v60
	v_fmac_f32_e32 v75, v24, v58
	v_fma_f32 v24, v42, v58, -v59
	v_fma_f32 v26, v40, v60, -v61
	v_sub_f32_e32 v34, v0, v51
	v_add_f32_e32 v40, v22, v20
	v_add_f32_e32 v44, v30, v28
	;; [unrolled: 1-line block ×4, first 2 shown]
	v_sub_f32_e32 v36, v74, v75
	v_sub_f32_e32 v38, v76, v77
	v_add_f32_e32 v42, v26, v24
	v_add_f32_e32 v47, v74, v75
	v_sub_f32_e32 v20, v22, v20
	v_sub_f32_e32 v22, v26, v24
	;; [unrolled: 1-line block ×3, first 2 shown]
	v_add_f32_e32 v49, v40, v44
	v_add_f32_e32 v55, v0, v51
	v_sub_f32_e32 v26, v34, v36
	v_sub_f32_e32 v28, v36, v38
	v_add_f32_e32 v30, v36, v38
	v_sub_f32_e32 v36, v40, v42
	v_sub_f32_e32 v48, v42, v44
	;; [unrolled: 1-line block ×5, first 2 shown]
	v_add_f32_e32 v22, v22, v24
	v_add_f32_e32 v42, v42, v49
	;; [unrolled: 1-line block ×3, first 2 shown]
	v_sub_f32_e32 v50, v0, v47
	v_mul_f32_e32 v28, 0x3f08b237, v28
	v_add_f32_e32 v30, v34, v30
	v_mul_f32_e32 v59, 0x3d64c772, v48
	v_mul_f32_e32 v61, 0x3d64c772, v54
	;; [unrolled: 1-line block ×3, first 2 shown]
	v_add_f32_e32 v22, v20, v22
	v_add_f32_e32 v47, v18, v49
	v_sub_f32_e32 v34, v38, v34
	v_sub_f32_e32 v20, v24, v20
	v_mul_f32_e32 v60, 0x3f4a47b2, v50
	v_mov_b32_e32 v75, v28
	v_mov_b32_e32 v54, v59
	v_add_f32_e32 v48, v32, v42
	v_mov_b32_e32 v32, v61
	v_mov_b32_e32 v18, v74
	;; [unrolled: 1-line block ×3, first 2 shown]
	v_mul_f32_e32 v38, 0xbf5ff5aa, v34
	v_sub_f32_e32 v0, v51, v0
	v_mul_f32_e32 v24, 0xbf5ff5aa, v20
	v_mul_f32_e32 v58, 0x3f4a47b2, v36
	v_fmac_f32_e32 v75, 0xbeae86e6, v26
	v_fmac_f32_e32 v54, 0x3f4a47b2, v36
	v_mov_b32_e32 v36, v48
	v_fmac_f32_e32 v32, 0x3f4a47b2, v50
	v_fmac_f32_e32 v18, 0xbeae86e6, v56
	;; [unrolled: 1-line block ×3, first 2 shown]
	v_fma_f32 v26, v26, s2, -v38
	v_sub_f32_e32 v38, v44, v40
	v_fma_f32 v44, v0, s4, -v60
	v_fma_f32 v24, v56, s2, -v24
	;; [unrolled: 1-line block ×4, first 2 shown]
	v_fmac_f32_e32 v36, 0xbf955555, v42
	v_fmac_f32_e32 v18, 0xbee1c552, v22
	v_add_f32_e32 v32, v32, v76
	v_add_f32_e32 v44, v44, v76
	v_fmac_f32_e32 v24, 0xbee1c552, v22
	v_fma_f32 v28, v34, s3, -v28
	v_fmac_f32_e32 v20, 0xbee1c552, v22
	v_add_f32_e32 v0, v0, v76
	v_fmac_f32_e32 v75, 0xbee1c552, v30
	v_add_f32_e32 v42, v54, v36
	v_sub_f32_e32 v49, v32, v18
	v_fmac_f32_e32 v26, 0xbee1c552, v30
	v_fma_f32 v40, v38, s4, -v58
	v_sub_f32_e32 v54, v44, v24
	v_fmac_f32_e32 v28, 0xbee1c552, v30
	v_add_f32_e32 v56, v20, v0
	v_sub_f32_e32 v58, v0, v20
	v_add_f32_e32 v60, v24, v44
	v_add_f32_e32 v74, v18, v32
	s_waitcnt vmcnt(0)
	v_mul_f32_e32 v20, v39, v73
	v_mul_f32_e32 v24, v41, v71
	v_mul_f32_e32 v30, v33, v65
	v_mul_f32_e32 v32, v35, v67
	v_fmac_f32_e32 v20, v25, v72
	v_fmac_f32_e32 v24, v23, v70
	;; [unrolled: 1-line block ×4, first 2 shown]
	v_mul_f32_e32 v23, v23, v71
	v_mul_f32_e32 v25, v25, v73
	;; [unrolled: 1-line block ×6, first 2 shown]
	v_fma_f32 v23, v41, v70, -v23
	v_fma_f32 v25, v39, v72, -v25
	;; [unrolled: 1-line block ×4, first 2 shown]
	v_add_f32_e32 v50, v75, v42
	v_sub_f32_e32 v75, v42, v75
	v_fmac_f32_e32 v0, v27, v62
	v_fmac_f32_e32 v18, v29, v68
	v_mul_f32_e32 v29, v29, v69
	v_mul_f32_e32 v27, v27, v63
	v_add_f32_e32 v39, v25, v23
	v_add_f32_e32 v42, v33, v35
	v_sub_f32_e32 v22, v0, v18
	v_sub_f32_e32 v34, v30, v32
	v_fma_f32 v29, v43, v68, -v29
	v_fma_f32 v27, v37, v62, -v27
	v_sub_f32_e32 v19, v39, v42
	v_add_f32_e32 v0, v0, v18
	v_add_f32_e32 v18, v20, v24
	;; [unrolled: 1-line block ×5, first 2 shown]
	v_mul_f32_e32 v43, 0x3d64c772, v19
	v_sub_f32_e32 v32, v18, v30
	v_add_f32_e32 v55, v26, v40
	v_fma_f32 v38, v38, s5, -v59
	v_sub_f32_e32 v61, v40, v26
	v_sub_f32_e32 v40, v37, v39
	v_mov_b32_e32 v21, v43
	v_mul_f32_e32 v32, 0x3d64c772, v32
	v_add_f32_e32 v36, v38, v36
	v_sub_f32_e32 v26, v20, v24
	v_mul_f32_e32 v41, 0x3f4a47b2, v40
	v_fmac_f32_e32 v21, 0x3f4a47b2, v40
	v_add_f32_e32 v19, v37, v42
	v_sub_f32_e32 v20, v0, v18
	v_mov_b32_e32 v40, v32
	v_sub_f32_e32 v57, v36, v28
	v_add_f32_e32 v59, v28, v36
	v_sub_f32_e32 v36, v26, v34
	v_add_f32_e32 v39, v39, v19
	v_mul_f32_e32 v24, 0x3f4a47b2, v20
	v_fmac_f32_e32 v40, 0x3f4a47b2, v20
	v_add_f32_e32 v20, v0, v30
	v_sub_f32_e32 v28, v22, v26
	v_mul_f32_e32 v36, 0x3f08b237, v36
	v_add_f32_e32 v26, v26, v34
	v_add_f32_e32 v19, v31, v39
	;; [unrolled: 1-line block ×3, first 2 shown]
	v_sub_f32_e32 v34, v34, v22
	v_mov_b32_e32 v38, v36
	v_add_f32_e32 v26, v22, v26
	v_mov_b32_e32 v31, v19
	v_add_f32_e32 v18, v17, v20
	v_mul_f32_e32 v22, 0xbf5ff5aa, v34
	v_sub_f32_e32 v37, v42, v37
	v_fmac_f32_e32 v38, 0xbeae86e6, v28
	v_fmac_f32_e32 v31, 0xbf955555, v39
	v_mov_b32_e32 v17, v18
	v_fma_f32 v28, v28, s2, -v22
	v_fma_f32 v22, v37, s4, -v41
	v_sub_f32_e32 v0, v30, v0
	v_fmac_f32_e32 v17, 0xbf955555, v20
	v_sub_f32_e32 v27, v27, v29
	v_sub_f32_e32 v20, v25, v23
	;; [unrolled: 1-line block ×3, first 2 shown]
	v_add_f32_e32 v41, v22, v31
	v_fma_f32 v22, v0, s4, -v24
	v_fma_f32 v0, v0, s5, -v32
	v_add_f32_e32 v40, v40, v17
	v_sub_f32_e32 v23, v20, v29
	v_add_f32_e32 v30, v22, v17
	v_add_f32_e32 v0, v0, v17
	v_mul_hi_u32 v17, v52, s6
	v_sub_f32_e32 v25, v27, v20
	v_mul_f32_e32 v33, 0x3f08b237, v23
	v_add_f32_e32 v20, v20, v29
	v_sub_f32_e32 v24, v29, v27
	v_fma_f32 v29, v34, s3, -v36
	v_fmac_f32_e32 v38, 0xbee1c552, v26
	v_add_f32_e32 v44, v27, v20
	v_fmac_f32_e32 v28, 0xbee1c552, v26
	v_fmac_f32_e32 v29, 0xbee1c552, v26
	v_fma_f32 v26, v24, s3, -v33
	v_fmac_f32_e32 v26, 0xbee1c552, v44
	v_mul_f32_e32 v22, 0xbf5ff5aa, v24
	v_add_f32_e32 v24, v26, v0
	v_sub_f32_e32 v26, v0, v26
	v_lshrrev_b32_e32 v0, 6, v17
	v_mul_lo_u32 v0, v0, s7
	v_mov_b32_e32 v35, v33
	v_fmac_f32_e32 v35, 0xbeae86e6, v25
	v_fma_f32 v42, v25, s2, -v22
	v_sub_u32_e32 v32, v52, v0
	v_mov_b32_e32 v0, s15
	v_addc_co_u32_e64 v17, s[0:1], v0, v4, s[0:1]
	v_lshlrev_b64 v[0:1], 3, v[1:2]
	v_fma_f32 v25, v37, s5, -v43
	v_add_co_u32_e64 v4, s[0:1], v3, v0
	v_addc_co_u32_e64 v17, s[0:1], v17, v1, s[0:1]
	v_lshlrev_b32_e32 v0, 3, v32
	v_add_co_u32_e64 v2, s[0:1], v4, v0
	v_add_f32_e32 v39, v21, v31
	v_fmac_f32_e32 v35, 0xbee1c552, v44
	v_fmac_f32_e32 v42, 0xbee1c552, v44
	v_add_f32_e32 v27, v25, v31
	v_addc_co_u32_e64 v3, s[0:1], 0, v17, s[0:1]
	v_add_u32_e32 v0, 56, v52
	v_add_f32_e32 v23, v28, v41
	v_sub_f32_e32 v22, v30, v42
	v_sub_f32_e32 v25, v27, v29
	v_add_f32_e32 v27, v29, v27
	v_sub_f32_e32 v29, v41, v28
	v_add_f32_e32 v28, v42, v30
	;; [unrolled: 2-line block ×3, first 2 shown]
	global_store_dwordx2 v[2:3], v[18:19], off
	global_store_dwordx2 v[2:3], v[30:31], off offset:960
	global_store_dwordx2 v[2:3], v[28:29], off offset:1920
	v_mul_hi_u32 v18, v0, s6
	s_movk_i32 s0, 0x1000
	global_store_dwordx2 v[2:3], v[26:27], off offset:2880
	global_store_dwordx2 v[2:3], v[24:25], off offset:3840
	v_add_co_u32_e64 v2, s[0:1], s0, v2
	v_lshrrev_b32_e32 v18, 6, v18
	v_mul_lo_u32 v19, v18, s7
	v_addc_co_u32_e64 v3, s[0:1], 0, v3, s[0:1]
	v_mov_b32_e32 v1, 0
	v_sub_u32_e32 v0, v0, v19
	s_movk_i32 s0, 0x348
	v_mad_u64_u32 v[18:19], s[0:1], v18, s0, v[0:1]
	v_mov_b32_e32 v19, v1
	v_add_f32_e32 v21, v38, v39
	v_sub_f32_e32 v20, v40, v35
	global_store_dwordx2 v[2:3], v[22:23], off offset:704
	global_store_dwordx2 v[2:3], v[20:21], off offset:1664
	v_lshlrev_b64 v[2:3], 3, v[18:19]
	v_add_u32_e32 v0, 0x78, v18
	v_add_co_u32_e64 v2, s[0:1], v4, v2
	v_addc_co_u32_e64 v3, s[0:1], v17, v3, s[0:1]
	global_store_dwordx2 v[2:3], v[47:48], off
	v_lshlrev_b64 v[2:3], 3, v[0:1]
	v_add_u32_e32 v0, 0xf0, v18
	v_add_co_u32_e64 v2, s[0:1], v4, v2
	v_addc_co_u32_e64 v3, s[0:1], v17, v3, s[0:1]
	global_store_dwordx2 v[2:3], v[74:75], off
	;; [unrolled: 5-line block ×6, first 2 shown]
	v_lshlrev_b64 v[2:3], 3, v[0:1]
	v_add_co_u32_e64 v2, s[0:1], v4, v2
	v_addc_co_u32_e64 v3, s[0:1], v17, v3, s[0:1]
	global_store_dwordx2 v[2:3], v[49:50], off
	v_add_u32_e32 v2, 0x70, v52
	v_cmp_gt_u32_e64 s[0:1], s7, v2
	s_and_b64 exec, exec, s[0:1]
	s_cbranch_execz .LBB0_42
; %bb.41:
	v_add_u32_e32 v0, -8, v52
	v_cndmask_b32_e32 v0, v0, v53, vcc
	v_mul_i32_i24_e32 v0, 6, v0
	v_lshlrev_b64 v[18:19], 3, v[0:1]
	v_mov_b32_e32 v0, s9
	v_add_co_u32_e32 v30, vcc, s8, v18
	v_addc_co_u32_e32 v31, vcc, v0, v19, vcc
	global_load_dwordx4 v[18:21], v[30:31], off offset:944
	global_load_dwordx4 v[22:25], v[30:31], off offset:960
	;; [unrolled: 1-line block ×3, first 2 shown]
	s_waitcnt vmcnt(2)
	v_mul_f32_e32 v0, v8, v19
	v_mul_f32_e32 v3, v6, v19
	v_mul_f32_e32 v19, v13, v21
	v_mul_f32_e32 v21, v9, v21
	s_waitcnt vmcnt(1)
	v_mul_f32_e32 v30, v14, v23
	v_mul_f32_e32 v23, v10, v23
	v_mul_f32_e32 v31, v15, v25
	v_mul_f32_e32 v25, v11, v25
	;; [unrolled: 5-line block ×3, first 2 shown]
	v_fmac_f32_e32 v0, v6, v18
	v_fma_f32 v3, v8, v18, -v3
	v_fmac_f32_e32 v19, v9, v20
	v_fma_f32 v6, v13, v20, -v21
	;; [unrolled: 2-line block ×6, first 2 shown]
	v_add_f32_e32 v12, v0, v33
	v_add_f32_e32 v13, v3, v11
	v_sub_f32_e32 v3, v3, v11
	v_add_f32_e32 v11, v19, v32
	v_add_f32_e32 v14, v6, v10
	v_sub_f32_e32 v15, v19, v32
	v_sub_f32_e32 v6, v6, v10
	v_add_f32_e32 v10, v30, v31
	v_add_f32_e32 v16, v8, v9
	v_sub_f32_e32 v18, v31, v30
	v_sub_f32_e32 v8, v9, v8
	;; [unrolled: 1-line block ×3, first 2 shown]
	v_add_f32_e32 v9, v11, v12
	v_add_f32_e32 v19, v14, v13
	v_sub_f32_e32 v20, v11, v12
	v_sub_f32_e32 v21, v14, v13
	;; [unrolled: 1-line block ×6, first 2 shown]
	v_add_f32_e32 v22, v18, v15
	v_add_f32_e32 v23, v8, v6
	v_sub_f32_e32 v24, v18, v15
	v_sub_f32_e32 v25, v8, v6
	;; [unrolled: 1-line block ×6, first 2 shown]
	v_add_f32_e32 v9, v10, v9
	v_add_f32_e32 v10, v16, v19
	;; [unrolled: 1-line block ×4, first 2 shown]
	v_mul_f32_e32 v12, 0x3f4a47b2, v12
	v_mul_f32_e32 v13, 0x3f4a47b2, v13
	;; [unrolled: 1-line block ×8, first 2 shown]
	v_add_f32_e32 v6, v7, v10
	v_fma_f32 v7, v20, s5, -v16
	v_fma_f32 v16, v21, s5, -v19
	;; [unrolled: 1-line block ×3, first 2 shown]
	v_fmac_f32_e32 v12, 0x3d64c772, v11
	v_fma_f32 v11, v21, s4, -v13
	v_fmac_f32_e32 v13, 0x3d64c772, v14
	v_fma_f32 v14, v15, s3, -v22
	v_fma_f32 v15, v26, s3, -v23
	v_fmac_f32_e32 v23, 0xbeae86e6, v8
	v_fma_f32 v20, v8, s2, -v25
	v_fmac_f32_e32 v23, 0xbee1c552, v3
	v_fmac_f32_e32 v15, 0xbee1c552, v3
	;; [unrolled: 1-line block ×3, first 2 shown]
	v_mov_b32_e32 v3, v1
	v_lshlrev_b64 v[2:3], 3, v[2:3]
	v_fmac_f32_e32 v22, 0xbeae86e6, v18
	v_fma_f32 v18, v18, s2, -v24
	v_add_co_u32_e32 v2, vcc, v4, v2
	v_add_f32_e32 v5, v5, v9
	v_fmac_f32_e32 v22, 0xbee1c552, v0
	v_fmac_f32_e32 v14, 0xbee1c552, v0
	;; [unrolled: 1-line block ×3, first 2 shown]
	v_addc_co_u32_e32 v3, vcc, v17, v3, vcc
	v_add_u32_e32 v0, 0xe8, v52
	v_mov_b32_e32 v8, v5
	v_mov_b32_e32 v21, v6
	global_store_dwordx2 v[2:3], v[5:6], off
	v_lshlrev_b64 v[2:3], 3, v[0:1]
	v_fmac_f32_e32 v8, 0xbf955555, v9
	v_fmac_f32_e32 v21, 0xbf955555, v10
	v_add_f32_e32 v24, v12, v8
	v_add_f32_e32 v25, v13, v21
	v_add_co_u32_e32 v2, vcc, v4, v2
	v_add_f32_e32 v13, v7, v8
	v_add_f32_e32 v19, v19, v8
	;; [unrolled: 1-line block ×3, first 2 shown]
	v_sub_f32_e32 v8, v25, v22
	v_addc_co_u32_e32 v3, vcc, v17, v3, vcc
	v_add_u32_e32 v0, 0x160, v52
	global_store_dwordx2 v[2:3], v[7:8], off
	v_lshlrev_b64 v[2:3], 3, v[0:1]
	v_add_f32_e32 v16, v16, v21
	v_add_f32_e32 v21, v11, v21
	v_add_co_u32_e32 v2, vcc, v4, v2
	v_add_f32_e32 v9, v20, v19
	v_sub_f32_e32 v10, v21, v18
	v_addc_co_u32_e32 v3, vcc, v17, v3, vcc
	v_add_u32_e32 v0, 0x1d8, v52
	global_store_dwordx2 v[2:3], v[9:10], off
	v_lshlrev_b64 v[2:3], 3, v[0:1]
	v_sub_f32_e32 v11, v13, v15
	v_add_co_u32_e32 v2, vcc, v4, v2
	v_add_f32_e32 v12, v14, v16
	v_addc_co_u32_e32 v3, vcc, v17, v3, vcc
	v_add_u32_e32 v0, 0x250, v52
	global_store_dwordx2 v[2:3], v[11:12], off
	v_lshlrev_b64 v[2:3], 3, v[0:1]
	v_add_f32_e32 v13, v15, v13
	v_add_co_u32_e32 v2, vcc, v4, v2
	v_sub_f32_e32 v14, v16, v14
	v_addc_co_u32_e32 v3, vcc, v17, v3, vcc
	v_add_u32_e32 v0, 0x2c8, v52
	global_store_dwordx2 v[2:3], v[13:14], off
	v_lshlrev_b64 v[2:3], 3, v[0:1]
	v_add_u32_e32 v0, 0x340, v52
	v_add_co_u32_e32 v2, vcc, v4, v2
	v_lshlrev_b64 v[0:1], 3, v[0:1]
	v_addc_co_u32_e32 v3, vcc, v17, v3, vcc
	v_add_co_u32_e32 v0, vcc, v4, v0
	v_sub_f32_e32 v15, v19, v20
	v_add_f32_e32 v16, v18, v21
	v_sub_f32_e32 v18, v24, v23
	v_add_f32_e32 v19, v22, v25
	v_addc_co_u32_e32 v1, vcc, v17, v1, vcc
	global_store_dwordx2 v[2:3], v[15:16], off
	global_store_dwordx2 v[0:1], v[18:19], off
.LBB0_42:
	s_endpgm
	.section	.rodata,"a",@progbits
	.p2align	6, 0x0
	.amdhsa_kernel fft_rtc_back_len840_factors_2_2_2_3_5_7_wgs_56_tpt_56_halfLds_sp_op_CI_CI_unitstride_sbrr_dirReg
		.amdhsa_group_segment_fixed_size 0
		.amdhsa_private_segment_fixed_size 0
		.amdhsa_kernarg_size 104
		.amdhsa_user_sgpr_count 6
		.amdhsa_user_sgpr_private_segment_buffer 1
		.amdhsa_user_sgpr_dispatch_ptr 0
		.amdhsa_user_sgpr_queue_ptr 0
		.amdhsa_user_sgpr_kernarg_segment_ptr 1
		.amdhsa_user_sgpr_dispatch_id 0
		.amdhsa_user_sgpr_flat_scratch_init 0
		.amdhsa_user_sgpr_private_segment_size 0
		.amdhsa_uses_dynamic_stack 0
		.amdhsa_system_sgpr_private_segment_wavefront_offset 0
		.amdhsa_system_sgpr_workgroup_id_x 1
		.amdhsa_system_sgpr_workgroup_id_y 0
		.amdhsa_system_sgpr_workgroup_id_z 0
		.amdhsa_system_sgpr_workgroup_info 0
		.amdhsa_system_vgpr_workitem_id 0
		.amdhsa_next_free_vgpr 85
		.amdhsa_next_free_sgpr 28
		.amdhsa_reserve_vcc 1
		.amdhsa_reserve_flat_scratch 0
		.amdhsa_float_round_mode_32 0
		.amdhsa_float_round_mode_16_64 0
		.amdhsa_float_denorm_mode_32 3
		.amdhsa_float_denorm_mode_16_64 3
		.amdhsa_dx10_clamp 1
		.amdhsa_ieee_mode 1
		.amdhsa_fp16_overflow 0
		.amdhsa_exception_fp_ieee_invalid_op 0
		.amdhsa_exception_fp_denorm_src 0
		.amdhsa_exception_fp_ieee_div_zero 0
		.amdhsa_exception_fp_ieee_overflow 0
		.amdhsa_exception_fp_ieee_underflow 0
		.amdhsa_exception_fp_ieee_inexact 0
		.amdhsa_exception_int_div_zero 0
	.end_amdhsa_kernel
	.text
.Lfunc_end0:
	.size	fft_rtc_back_len840_factors_2_2_2_3_5_7_wgs_56_tpt_56_halfLds_sp_op_CI_CI_unitstride_sbrr_dirReg, .Lfunc_end0-fft_rtc_back_len840_factors_2_2_2_3_5_7_wgs_56_tpt_56_halfLds_sp_op_CI_CI_unitstride_sbrr_dirReg
                                        ; -- End function
	.section	.AMDGPU.csdata,"",@progbits
; Kernel info:
; codeLenInByte = 9784
; NumSgprs: 32
; NumVgprs: 85
; ScratchSize: 0
; MemoryBound: 0
; FloatMode: 240
; IeeeMode: 1
; LDSByteSize: 0 bytes/workgroup (compile time only)
; SGPRBlocks: 3
; VGPRBlocks: 21
; NumSGPRsForWavesPerEU: 32
; NumVGPRsForWavesPerEU: 85
; Occupancy: 2
; WaveLimiterHint : 1
; COMPUTE_PGM_RSRC2:SCRATCH_EN: 0
; COMPUTE_PGM_RSRC2:USER_SGPR: 6
; COMPUTE_PGM_RSRC2:TRAP_HANDLER: 0
; COMPUTE_PGM_RSRC2:TGID_X_EN: 1
; COMPUTE_PGM_RSRC2:TGID_Y_EN: 0
; COMPUTE_PGM_RSRC2:TGID_Z_EN: 0
; COMPUTE_PGM_RSRC2:TIDIG_COMP_CNT: 0
	.type	__hip_cuid_558b4b3d47d6d81,@object ; @__hip_cuid_558b4b3d47d6d81
	.section	.bss,"aw",@nobits
	.globl	__hip_cuid_558b4b3d47d6d81
__hip_cuid_558b4b3d47d6d81:
	.byte	0                               ; 0x0
	.size	__hip_cuid_558b4b3d47d6d81, 1

	.ident	"AMD clang version 19.0.0git (https://github.com/RadeonOpenCompute/llvm-project roc-6.4.0 25133 c7fe45cf4b819c5991fe208aaa96edf142730f1d)"
	.section	".note.GNU-stack","",@progbits
	.addrsig
	.addrsig_sym __hip_cuid_558b4b3d47d6d81
	.amdgpu_metadata
---
amdhsa.kernels:
  - .args:
      - .actual_access:  read_only
        .address_space:  global
        .offset:         0
        .size:           8
        .value_kind:     global_buffer
      - .offset:         8
        .size:           8
        .value_kind:     by_value
      - .actual_access:  read_only
        .address_space:  global
        .offset:         16
        .size:           8
        .value_kind:     global_buffer
      - .actual_access:  read_only
        .address_space:  global
        .offset:         24
        .size:           8
        .value_kind:     global_buffer
      - .actual_access:  read_only
        .address_space:  global
        .offset:         32
        .size:           8
        .value_kind:     global_buffer
      - .offset:         40
        .size:           8
        .value_kind:     by_value
      - .actual_access:  read_only
        .address_space:  global
        .offset:         48
        .size:           8
        .value_kind:     global_buffer
      - .actual_access:  read_only
        .address_space:  global
        .offset:         56
        .size:           8
        .value_kind:     global_buffer
      - .offset:         64
        .size:           4
        .value_kind:     by_value
      - .actual_access:  read_only
        .address_space:  global
        .offset:         72
        .size:           8
        .value_kind:     global_buffer
      - .actual_access:  read_only
        .address_space:  global
        .offset:         80
        .size:           8
        .value_kind:     global_buffer
      - .actual_access:  read_only
        .address_space:  global
        .offset:         88
        .size:           8
        .value_kind:     global_buffer
      - .actual_access:  write_only
        .address_space:  global
        .offset:         96
        .size:           8
        .value_kind:     global_buffer
    .group_segment_fixed_size: 0
    .kernarg_segment_align: 8
    .kernarg_segment_size: 104
    .language:       OpenCL C
    .language_version:
      - 2
      - 0
    .max_flat_workgroup_size: 56
    .name:           fft_rtc_back_len840_factors_2_2_2_3_5_7_wgs_56_tpt_56_halfLds_sp_op_CI_CI_unitstride_sbrr_dirReg
    .private_segment_fixed_size: 0
    .sgpr_count:     32
    .sgpr_spill_count: 0
    .symbol:         fft_rtc_back_len840_factors_2_2_2_3_5_7_wgs_56_tpt_56_halfLds_sp_op_CI_CI_unitstride_sbrr_dirReg.kd
    .uniform_work_group_size: 1
    .uses_dynamic_stack: false
    .vgpr_count:     85
    .vgpr_spill_count: 0
    .wavefront_size: 64
amdhsa.target:   amdgcn-amd-amdhsa--gfx906
amdhsa.version:
  - 1
  - 2
...

	.end_amdgpu_metadata
